;; amdgpu-corpus repo=ROCm/rocFFT kind=compiled arch=gfx1030 opt=O3
	.text
	.amdgcn_target "amdgcn-amd-amdhsa--gfx1030"
	.amdhsa_code_object_version 6
	.protected	fft_rtc_fwd_len1694_factors_11_2_11_7_wgs_154_tpt_154_halfLds_sp_op_CI_CI_unitstride_sbrr_C2R_dirReg ; -- Begin function fft_rtc_fwd_len1694_factors_11_2_11_7_wgs_154_tpt_154_halfLds_sp_op_CI_CI_unitstride_sbrr_C2R_dirReg
	.globl	fft_rtc_fwd_len1694_factors_11_2_11_7_wgs_154_tpt_154_halfLds_sp_op_CI_CI_unitstride_sbrr_C2R_dirReg
	.p2align	8
	.type	fft_rtc_fwd_len1694_factors_11_2_11_7_wgs_154_tpt_154_halfLds_sp_op_CI_CI_unitstride_sbrr_C2R_dirReg,@function
fft_rtc_fwd_len1694_factors_11_2_11_7_wgs_154_tpt_154_halfLds_sp_op_CI_CI_unitstride_sbrr_C2R_dirReg: ; @fft_rtc_fwd_len1694_factors_11_2_11_7_wgs_154_tpt_154_halfLds_sp_op_CI_CI_unitstride_sbrr_C2R_dirReg
; %bb.0:
	s_clause 0x2
	s_load_dwordx4 s[12:15], s[4:5], 0x0
	s_load_dwordx4 s[8:11], s[4:5], 0x58
	;; [unrolled: 1-line block ×3, first 2 shown]
	v_mul_u32_u24_e32 v1, 0x1aa, v0
	v_mov_b32_e32 v3, 0
	v_add_nc_u32_sdwa v5, s6, v1 dst_sel:DWORD dst_unused:UNUSED_PAD src0_sel:DWORD src1_sel:WORD_1
	v_mov_b32_e32 v1, 0
	v_mov_b32_e32 v6, v3
	v_mov_b32_e32 v2, 0
	s_waitcnt lgkmcnt(0)
	v_cmp_lt_u64_e64 s0, s[14:15], 2
	s_and_b32 vcc_lo, exec_lo, s0
	s_cbranch_vccnz .LBB0_8
; %bb.1:
	s_load_dwordx2 s[0:1], s[4:5], 0x10
	v_mov_b32_e32 v1, 0
	v_mov_b32_e32 v2, 0
	s_add_u32 s2, s18, 8
	s_addc_u32 s3, s19, 0
	s_add_u32 s6, s16, 8
	s_addc_u32 s7, s17, 0
	v_mov_b32_e32 v25, v2
	v_mov_b32_e32 v24, v1
	s_mov_b64 s[22:23], 1
	s_waitcnt lgkmcnt(0)
	s_add_u32 s20, s0, 8
	s_addc_u32 s21, s1, 0
.LBB0_2:                                ; =>This Inner Loop Header: Depth=1
	s_load_dwordx2 s[24:25], s[20:21], 0x0
                                        ; implicit-def: $vgpr26_vgpr27
	s_mov_b32 s0, exec_lo
	s_waitcnt lgkmcnt(0)
	v_or_b32_e32 v4, s25, v6
	v_cmpx_ne_u64_e32 0, v[3:4]
	s_xor_b32 s1, exec_lo, s0
	s_cbranch_execz .LBB0_4
; %bb.3:                                ;   in Loop: Header=BB0_2 Depth=1
	v_cvt_f32_u32_e32 v4, s24
	v_cvt_f32_u32_e32 v7, s25
	s_sub_u32 s0, 0, s24
	s_subb_u32 s26, 0, s25
	v_fmac_f32_e32 v4, 0x4f800000, v7
	v_rcp_f32_e32 v4, v4
	v_mul_f32_e32 v4, 0x5f7ffffc, v4
	v_mul_f32_e32 v7, 0x2f800000, v4
	v_trunc_f32_e32 v7, v7
	v_fmac_f32_e32 v4, 0xcf800000, v7
	v_cvt_u32_f32_e32 v7, v7
	v_cvt_u32_f32_e32 v4, v4
	v_mul_lo_u32 v8, s0, v7
	v_mul_hi_u32 v9, s0, v4
	v_mul_lo_u32 v10, s26, v4
	v_add_nc_u32_e32 v8, v9, v8
	v_mul_lo_u32 v9, s0, v4
	v_add_nc_u32_e32 v8, v8, v10
	v_mul_hi_u32 v10, v4, v9
	v_mul_lo_u32 v11, v4, v8
	v_mul_hi_u32 v12, v4, v8
	v_mul_hi_u32 v13, v7, v9
	v_mul_lo_u32 v9, v7, v9
	v_mul_hi_u32 v14, v7, v8
	v_mul_lo_u32 v8, v7, v8
	v_add_co_u32 v10, vcc_lo, v10, v11
	v_add_co_ci_u32_e32 v11, vcc_lo, 0, v12, vcc_lo
	v_add_co_u32 v9, vcc_lo, v10, v9
	v_add_co_ci_u32_e32 v9, vcc_lo, v11, v13, vcc_lo
	v_add_co_ci_u32_e32 v10, vcc_lo, 0, v14, vcc_lo
	v_add_co_u32 v8, vcc_lo, v9, v8
	v_add_co_ci_u32_e32 v9, vcc_lo, 0, v10, vcc_lo
	v_add_co_u32 v4, vcc_lo, v4, v8
	v_add_co_ci_u32_e32 v7, vcc_lo, v7, v9, vcc_lo
	v_mul_hi_u32 v8, s0, v4
	v_mul_lo_u32 v10, s26, v4
	v_mul_lo_u32 v9, s0, v7
	v_add_nc_u32_e32 v8, v8, v9
	v_mul_lo_u32 v9, s0, v4
	v_add_nc_u32_e32 v8, v8, v10
	v_mul_hi_u32 v10, v4, v9
	v_mul_lo_u32 v11, v4, v8
	v_mul_hi_u32 v12, v4, v8
	v_mul_hi_u32 v13, v7, v9
	v_mul_lo_u32 v9, v7, v9
	v_mul_hi_u32 v14, v7, v8
	v_mul_lo_u32 v8, v7, v8
	v_add_co_u32 v10, vcc_lo, v10, v11
	v_add_co_ci_u32_e32 v11, vcc_lo, 0, v12, vcc_lo
	v_add_co_u32 v9, vcc_lo, v10, v9
	v_add_co_ci_u32_e32 v9, vcc_lo, v11, v13, vcc_lo
	v_add_co_ci_u32_e32 v10, vcc_lo, 0, v14, vcc_lo
	v_add_co_u32 v8, vcc_lo, v9, v8
	v_add_co_ci_u32_e32 v9, vcc_lo, 0, v10, vcc_lo
	v_add_co_u32 v4, vcc_lo, v4, v8
	v_add_co_ci_u32_e32 v11, vcc_lo, v7, v9, vcc_lo
	v_mul_hi_u32 v13, v5, v4
	v_mad_u64_u32 v[9:10], null, v6, v4, 0
	v_mad_u64_u32 v[7:8], null, v5, v11, 0
	;; [unrolled: 1-line block ×3, first 2 shown]
	v_add_co_u32 v4, vcc_lo, v13, v7
	v_add_co_ci_u32_e32 v7, vcc_lo, 0, v8, vcc_lo
	v_add_co_u32 v4, vcc_lo, v4, v9
	v_add_co_ci_u32_e32 v4, vcc_lo, v7, v10, vcc_lo
	v_add_co_ci_u32_e32 v7, vcc_lo, 0, v12, vcc_lo
	v_add_co_u32 v4, vcc_lo, v4, v11
	v_add_co_ci_u32_e32 v9, vcc_lo, 0, v7, vcc_lo
	v_mul_lo_u32 v10, s25, v4
	v_mad_u64_u32 v[7:8], null, s24, v4, 0
	v_mul_lo_u32 v11, s24, v9
	v_sub_co_u32 v7, vcc_lo, v5, v7
	v_add3_u32 v8, v8, v11, v10
	v_sub_nc_u32_e32 v10, v6, v8
	v_subrev_co_ci_u32_e64 v10, s0, s25, v10, vcc_lo
	v_add_co_u32 v11, s0, v4, 2
	v_add_co_ci_u32_e64 v12, s0, 0, v9, s0
	v_sub_co_u32 v13, s0, v7, s24
	v_sub_co_ci_u32_e32 v8, vcc_lo, v6, v8, vcc_lo
	v_subrev_co_ci_u32_e64 v10, s0, 0, v10, s0
	v_cmp_le_u32_e32 vcc_lo, s24, v13
	v_cmp_eq_u32_e64 s0, s25, v8
	v_cndmask_b32_e64 v13, 0, -1, vcc_lo
	v_cmp_le_u32_e32 vcc_lo, s25, v10
	v_cndmask_b32_e64 v14, 0, -1, vcc_lo
	v_cmp_le_u32_e32 vcc_lo, s24, v7
	;; [unrolled: 2-line block ×3, first 2 shown]
	v_cndmask_b32_e64 v15, 0, -1, vcc_lo
	v_cmp_eq_u32_e32 vcc_lo, s25, v10
	v_cndmask_b32_e64 v7, v15, v7, s0
	v_cndmask_b32_e32 v10, v14, v13, vcc_lo
	v_add_co_u32 v13, vcc_lo, v4, 1
	v_add_co_ci_u32_e32 v14, vcc_lo, 0, v9, vcc_lo
	v_cmp_ne_u32_e32 vcc_lo, 0, v10
	v_cndmask_b32_e32 v8, v14, v12, vcc_lo
	v_cndmask_b32_e32 v10, v13, v11, vcc_lo
	v_cmp_ne_u32_e32 vcc_lo, 0, v7
	v_cndmask_b32_e32 v27, v9, v8, vcc_lo
	v_cndmask_b32_e32 v26, v4, v10, vcc_lo
.LBB0_4:                                ;   in Loop: Header=BB0_2 Depth=1
	s_andn2_saveexec_b32 s0, s1
	s_cbranch_execz .LBB0_6
; %bb.5:                                ;   in Loop: Header=BB0_2 Depth=1
	v_cvt_f32_u32_e32 v4, s24
	s_sub_i32 s1, 0, s24
	v_mov_b32_e32 v27, v3
	v_rcp_iflag_f32_e32 v4, v4
	v_mul_f32_e32 v4, 0x4f7ffffe, v4
	v_cvt_u32_f32_e32 v4, v4
	v_mul_lo_u32 v7, s1, v4
	v_mul_hi_u32 v7, v4, v7
	v_add_nc_u32_e32 v4, v4, v7
	v_mul_hi_u32 v4, v5, v4
	v_mul_lo_u32 v7, v4, s24
	v_add_nc_u32_e32 v8, 1, v4
	v_sub_nc_u32_e32 v7, v5, v7
	v_subrev_nc_u32_e32 v9, s24, v7
	v_cmp_le_u32_e32 vcc_lo, s24, v7
	v_cndmask_b32_e32 v7, v7, v9, vcc_lo
	v_cndmask_b32_e32 v4, v4, v8, vcc_lo
	v_cmp_le_u32_e32 vcc_lo, s24, v7
	v_add_nc_u32_e32 v8, 1, v4
	v_cndmask_b32_e32 v26, v4, v8, vcc_lo
.LBB0_6:                                ;   in Loop: Header=BB0_2 Depth=1
	s_or_b32 exec_lo, exec_lo, s0
	v_mul_lo_u32 v4, v27, s24
	v_mul_lo_u32 v9, v26, s25
	s_load_dwordx2 s[0:1], s[6:7], 0x0
	v_mad_u64_u32 v[7:8], null, v26, s24, 0
	s_load_dwordx2 s[24:25], s[2:3], 0x0
	s_add_u32 s22, s22, 1
	s_addc_u32 s23, s23, 0
	s_add_u32 s2, s2, 8
	s_addc_u32 s3, s3, 0
	s_add_u32 s6, s6, 8
	v_add3_u32 v4, v8, v9, v4
	v_sub_co_u32 v5, vcc_lo, v5, v7
	s_addc_u32 s7, s7, 0
	s_add_u32 s20, s20, 8
	v_sub_co_ci_u32_e32 v4, vcc_lo, v6, v4, vcc_lo
	s_addc_u32 s21, s21, 0
	s_waitcnt lgkmcnt(0)
	v_mul_lo_u32 v6, s0, v4
	v_mul_lo_u32 v7, s1, v5
	v_mad_u64_u32 v[1:2], null, s0, v5, v[1:2]
	v_mul_lo_u32 v4, s24, v4
	v_mul_lo_u32 v8, s25, v5
	v_mad_u64_u32 v[24:25], null, s24, v5, v[24:25]
	v_cmp_ge_u64_e64 s0, s[22:23], s[14:15]
	v_add3_u32 v2, v7, v2, v6
	v_add3_u32 v25, v8, v25, v4
	s_and_b32 vcc_lo, exec_lo, s0
	s_cbranch_vccnz .LBB0_9
; %bb.7:                                ;   in Loop: Header=BB0_2 Depth=1
	v_mov_b32_e32 v5, v26
	v_mov_b32_e32 v6, v27
	s_branch .LBB0_2
.LBB0_8:
	v_mov_b32_e32 v25, v2
	v_mov_b32_e32 v27, v6
	;; [unrolled: 1-line block ×4, first 2 shown]
.LBB0_9:
	s_load_dwordx2 s[0:1], s[4:5], 0x28
	v_mul_hi_u32 v3, 0x1a98ef7, v0
	s_lshl_b64 s[4:5], s[14:15], 3
                                        ; implicit-def: $vgpr28
	s_add_u32 s2, s18, s4
	s_addc_u32 s3, s19, s5
	s_waitcnt lgkmcnt(0)
	v_cmp_gt_u64_e32 vcc_lo, s[0:1], v[26:27]
	v_cmp_le_u64_e64 s0, s[0:1], v[26:27]
	s_and_saveexec_b32 s1, s0
	s_xor_b32 s0, exec_lo, s1
; %bb.10:
	v_mul_u32_u24_e32 v1, 0x9a, v3
                                        ; implicit-def: $vgpr3
	v_sub_nc_u32_e32 v28, v0, v1
                                        ; implicit-def: $vgpr0
                                        ; implicit-def: $vgpr1_vgpr2
; %bb.11:
	s_or_saveexec_b32 s1, s0
	s_load_dwordx2 s[2:3], s[2:3], 0x0
	s_xor_b32 exec_lo, exec_lo, s1
	s_cbranch_execz .LBB0_15
; %bb.12:
	s_add_u32 s4, s16, s4
	s_addc_u32 s5, s17, s5
	v_lshlrev_b64 v[1:2], 3, v[1:2]
	s_load_dwordx2 s[4:5], s[4:5], 0x0
	s_waitcnt lgkmcnt(0)
	v_mul_lo_u32 v6, s5, v26
	v_mul_lo_u32 v7, s4, v27
	v_mad_u64_u32 v[4:5], null, s4, v26, 0
	s_mov_b32 s4, exec_lo
	v_add3_u32 v5, v5, v7, v6
	v_mul_u32_u24_e32 v6, 0x9a, v3
	v_lshlrev_b64 v[3:4], 3, v[4:5]
	v_sub_nc_u32_e32 v28, v0, v6
	v_lshlrev_b32_e32 v29, 3, v28
	v_add_co_u32 v0, s0, s8, v3
	v_add_co_ci_u32_e64 v3, s0, s9, v4, s0
	v_add_co_u32 v0, s0, v0, v1
	v_add_co_ci_u32_e64 v1, s0, v3, v2, s0
	;; [unrolled: 2-line block ×3, first 2 shown]
	v_add_nc_u32_e32 v29, 0, v29
	v_add_co_u32 v4, s0, 0x800, v2
	v_add_co_ci_u32_e64 v5, s0, 0, v3, s0
	v_add_co_u32 v6, s0, 0x1000, v2
	v_add_co_ci_u32_e64 v7, s0, 0, v3, s0
	;; [unrolled: 2-line block ×6, first 2 shown]
	s_clause 0xa
	global_load_dwordx2 v[16:17], v[2:3], off
	global_load_dwordx2 v[2:3], v[2:3], off offset:1232
	global_load_dwordx2 v[18:19], v[4:5], off offset:416
	;; [unrolled: 1-line block ×10, first 2 shown]
	v_add_nc_u32_e32 v30, 0x800, v29
	v_add_nc_u32_e32 v31, 0x1200, v29
	;; [unrolled: 1-line block ×4, first 2 shown]
	s_waitcnt vmcnt(9)
	ds_write2_b64 v29, v[16:17], v[2:3] offset1:154
	s_waitcnt vmcnt(7)
	ds_write2_b64 v30, v[18:19], v[4:5] offset0:52 offset1:206
	s_waitcnt vmcnt(5)
	ds_write2_b64 v31, v[6:7], v[20:21] offset0:40 offset1:194
	;; [unrolled: 2-line block ×4, first 2 shown]
	s_waitcnt vmcnt(0)
	ds_write_b64 v29, v[14:15] offset:12320
	v_cmpx_eq_u32_e32 0x99, v28
	s_cbranch_execz .LBB0_14
; %bb.13:
	v_add_co_u32 v0, s0, 0x3000, v0
	v_add_co_ci_u32_e64 v1, s0, 0, v1, s0
	v_mov_b32_e32 v2, 0
	v_mov_b32_e32 v28, 0x99
	global_load_dwordx2 v[0:1], v[0:1], off offset:1264
	s_waitcnt vmcnt(0)
	ds_write_b64 v2, v[0:1] offset:13552
.LBB0_14:
	s_or_b32 exec_lo, exec_lo, s4
.LBB0_15:
	s_or_b32 exec_lo, exec_lo, s1
	v_lshlrev_b32_e32 v0, 3, v28
	s_waitcnt lgkmcnt(0)
	s_barrier
	buffer_gl0_inv
	s_add_u32 s1, s12, 0x3498
	v_add_nc_u32_e32 v33, 0, v0
	v_sub_nc_u32_e32 v4, 0, v0
	s_addc_u32 s4, s13, 0
	s_mov_b32 s5, exec_lo
                                        ; implicit-def: $vgpr0_vgpr1
	ds_read_b32 v5, v33
	ds_read_b32 v6, v4 offset:13552
	s_waitcnt lgkmcnt(0)
	v_add_f32_e32 v2, v6, v5
	v_sub_f32_e32 v3, v5, v6
	v_cmpx_ne_u32_e32 0, v28
	s_xor_b32 s5, exec_lo, s5
	s_cbranch_execz .LBB0_17
; %bb.16:
	v_mov_b32_e32 v29, 0
	v_add_f32_e32 v7, v6, v5
	v_sub_f32_e32 v8, v5, v6
	v_lshlrev_b64 v[0:1], 3, v[28:29]
	v_add_co_u32 v0, s0, s1, v0
	v_add_co_ci_u32_e64 v1, s0, s4, v1, s0
	global_load_dwordx2 v[0:1], v[0:1], off
	ds_read_b32 v2, v4 offset:13556
	ds_read_b32 v3, v33 offset:4
	s_waitcnt lgkmcnt(0)
	v_add_f32_e32 v9, v2, v3
	v_sub_f32_e32 v2, v3, v2
	s_waitcnt vmcnt(0)
	v_fma_f32 v5, -v8, v1, v7
	v_fma_f32 v6, v9, v1, -v2
	v_fma_f32 v10, v8, v1, v7
	v_fma_f32 v3, v9, v1, v2
	v_fmac_f32_e32 v5, v0, v9
	v_fmac_f32_e32 v6, v8, v0
	v_fma_f32 v2, -v0, v9, v10
	v_fmac_f32_e32 v3, v8, v0
	v_mov_b32_e32 v0, v28
	v_mov_b32_e32 v1, v29
	ds_write_b64 v4, v[5:6] offset:13552
.LBB0_17:
	s_andn2_saveexec_b32 s0, s5
	s_cbranch_execz .LBB0_19
; %bb.18:
	v_mov_b32_e32 v7, 0
	ds_read_b64 v[0:1], v7 offset:6776
	s_waitcnt lgkmcnt(0)
	v_add_f32_e32 v5, v0, v0
	v_mul_f32_e32 v6, -2.0, v1
	v_mov_b32_e32 v0, 0
	v_mov_b32_e32 v1, 0
	ds_write_b64 v7, v[5:6] offset:6776
.LBB0_19:
	s_or_b32 exec_lo, exec_lo, s0
	v_lshlrev_b64 v[0:1], 3, v[0:1]
	v_add_co_u32 v0, s0, s1, v0
	v_add_co_ci_u32_e64 v1, s0, s4, v1, s0
	v_add_co_u32 v7, s0, 0x800, v0
	global_load_dwordx2 v[5:6], v[0:1], off offset:1232
	v_add_co_ci_u32_e64 v8, s0, 0, v1, s0
	v_add_co_u32 v11, s0, 0x1000, v0
	s_clause 0x1
	global_load_dwordx2 v[9:10], v[7:8], off offset:416
	global_load_dwordx2 v[7:8], v[7:8], off offset:1648
	v_add_co_ci_u32_e64 v12, s0, 0, v1, s0
	ds_write_b64 v33, v[2:3]
	v_cmp_gt_u32_e64 s0, 0x4d, v28
	global_load_dwordx2 v[11:12], v[11:12], off offset:832
	ds_read_b64 v[2:3], v33 offset:1232
	ds_read_b64 v[13:14], v4 offset:12320
	s_waitcnt lgkmcnt(0)
	v_add_f32_e32 v15, v2, v13
	v_add_f32_e32 v16, v14, v3
	v_sub_f32_e32 v17, v2, v13
	v_sub_f32_e32 v2, v3, v14
	s_waitcnt vmcnt(3)
	v_fma_f32 v18, v17, v6, v15
	v_fma_f32 v3, v16, v6, v2
	v_fma_f32 v13, -v17, v6, v15
	v_fma_f32 v14, v16, v6, -v2
	v_fma_f32 v2, -v5, v16, v18
	v_fmac_f32_e32 v3, v17, v5
	v_fmac_f32_e32 v13, v5, v16
	v_fmac_f32_e32 v14, v17, v5
	ds_write_b64 v33, v[2:3] offset:1232
	ds_write_b64 v4, v[13:14] offset:12320
	ds_read_b64 v[2:3], v33 offset:2464
	ds_read_b64 v[5:6], v4 offset:11088
	s_waitcnt lgkmcnt(0)
	v_add_f32_e32 v13, v2, v5
	v_add_f32_e32 v14, v6, v3
	v_sub_f32_e32 v15, v2, v5
	v_sub_f32_e32 v2, v3, v6
	s_waitcnt vmcnt(2)
	v_fma_f32 v16, v15, v10, v13
	v_fma_f32 v3, v14, v10, v2
	v_fma_f32 v5, -v15, v10, v13
	v_fma_f32 v6, v14, v10, -v2
	v_fma_f32 v2, -v9, v14, v16
	v_fmac_f32_e32 v3, v15, v9
	v_fmac_f32_e32 v5, v9, v14
	v_fmac_f32_e32 v6, v15, v9
	ds_write_b64 v33, v[2:3] offset:2464
	ds_write_b64 v4, v[5:6] offset:11088
	ds_read_b64 v[2:3], v33 offset:3696
	ds_read_b64 v[5:6], v4 offset:9856
	s_waitcnt lgkmcnt(0)
	v_add_f32_e32 v9, v2, v5
	v_add_f32_e32 v10, v6, v3
	v_sub_f32_e32 v13, v2, v5
	v_sub_f32_e32 v2, v3, v6
	s_waitcnt vmcnt(1)
	v_fma_f32 v14, v13, v8, v9
	v_fma_f32 v3, v10, v8, v2
	v_fma_f32 v5, -v13, v8, v9
	v_fma_f32 v6, v10, v8, -v2
	v_fma_f32 v2, -v7, v10, v14
	v_fmac_f32_e32 v3, v13, v7
	v_fmac_f32_e32 v5, v7, v10
	v_fmac_f32_e32 v6, v13, v7
	ds_write_b64 v33, v[2:3] offset:3696
	ds_write_b64 v4, v[5:6] offset:9856
	ds_read_b64 v[2:3], v33 offset:4928
	ds_read_b64 v[5:6], v4 offset:8624
	s_waitcnt lgkmcnt(0)
	v_add_f32_e32 v7, v2, v5
	v_add_f32_e32 v8, v6, v3
	v_sub_f32_e32 v9, v2, v5
	v_sub_f32_e32 v2, v3, v6
	s_waitcnt vmcnt(0)
	v_fma_f32 v10, v9, v12, v7
	v_fma_f32 v3, v8, v12, v2
	v_fma_f32 v5, -v9, v12, v7
	v_fma_f32 v6, v8, v12, -v2
	v_fma_f32 v2, -v11, v8, v10
	v_fmac_f32_e32 v3, v9, v11
	v_fmac_f32_e32 v5, v11, v8
	v_fmac_f32_e32 v6, v9, v11
	ds_write_b64 v33, v[2:3] offset:4928
	ds_write_b64 v4, v[5:6] offset:8624
	s_and_saveexec_b32 s4, s0
	s_cbranch_execz .LBB0_21
; %bb.20:
	v_add_co_u32 v0, s1, 0x1800, v0
	v_add_co_ci_u32_e64 v1, s1, 0, v1, s1
	global_load_dwordx2 v[0:1], v[0:1], off offset:16
	ds_read_b64 v[2:3], v33 offset:6160
	ds_read_b64 v[5:6], v4 offset:7392
	s_waitcnt lgkmcnt(0)
	v_add_f32_e32 v7, v2, v5
	v_add_f32_e32 v8, v6, v3
	v_sub_f32_e32 v9, v2, v5
	v_sub_f32_e32 v3, v3, v6
	s_waitcnt vmcnt(0)
	v_fma_f32 v10, v9, v1, v7
	v_fma_f32 v2, v8, v1, v3
	v_fma_f32 v5, -v9, v1, v7
	v_fma_f32 v6, v8, v1, -v3
	v_fma_f32 v1, -v0, v8, v10
	v_fmac_f32_e32 v2, v9, v0
	v_fmac_f32_e32 v5, v0, v8
	;; [unrolled: 1-line block ×3, first 2 shown]
	ds_write_b64 v33, v[1:2] offset:6160
	ds_write_b64 v4, v[5:6] offset:7392
.LBB0_21:
	s_or_b32 exec_lo, exec_lo, s4
	s_waitcnt lgkmcnt(0)
	s_barrier
	buffer_gl0_inv
	s_barrier
	buffer_gl0_inv
	ds_read2_b64 v[1:4], v33 offset1:154
	v_add_nc_u32_e32 v0, 0x800, v33
	ds_read_b64 v[21:22], v33 offset:12320
	ds_read2_b64 v[5:8], v0 offset0:52 offset1:206
	v_add_nc_u32_e32 v9, 0x1200, v33
	v_add_nc_u32_e32 v13, 0x1c00, v33
	;; [unrolled: 1-line block ×3, first 2 shown]
	ds_read2_b64 v[9:12], v9 offset0:40 offset1:194
	ds_read2_b64 v[13:16], v13 offset0:28 offset1:182
	;; [unrolled: 1-line block ×3, first 2 shown]
	s_waitcnt lgkmcnt(0)
	s_barrier
	buffer_gl0_inv
	v_add_f32_e32 v23, v1, v3
	v_add_f32_e32 v29, v2, v4
	;; [unrolled: 1-line block ×3, first 2 shown]
	v_sub_f32_e32 v32, v3, v21
	v_add_f32_e32 v3, v23, v5
	v_sub_f32_e32 v31, v4, v22
	v_add_f32_e32 v34, v22, v4
	v_add_f32_e32 v4, v29, v6
	v_mul_f32_e32 v38, 0xbf7d64f0, v32
	v_add_f32_e32 v3, v3, v7
	v_mul_f32_e32 v23, 0xbf0a6770, v31
	v_sub_f32_e32 v48, v6, v20
	v_add_f32_e32 v4, v4, v8
	v_mul_f32_e32 v29, 0xbf0a6770, v32
	v_add_f32_e32 v3, v3, v9
	v_mul_f32_e32 v35, 0xbf68dda4, v31
	v_mul_f32_e32 v36, 0xbf68dda4, v32
	v_add_f32_e32 v4, v4, v10
	v_mul_f32_e32 v37, 0xbf7d64f0, v31
	v_add_f32_e32 v3, v3, v11
	v_mul_f32_e32 v39, 0xbf4178ce, v31
	v_fma_f32 v40, 0x3f575c64, v30, -v23
	v_add_f32_e32 v4, v4, v12
	v_fmamk_f32 v45, v34, 0xbe11bafb, v38
	v_add_f32_e32 v3, v3, v13
	v_mul_f32_e32 v31, 0xbe903f40, v31
	v_add_f32_e32 v50, v19, v5
	v_add_f32_e32 v4, v4, v14
	v_mul_f32_e32 v51, 0xbf68dda4, v48
	v_add_f32_e32 v3, v3, v15
	v_sub_f32_e32 v5, v5, v19
	v_fmamk_f32 v41, v34, 0x3f575c64, v29
	v_add_f32_e32 v4, v4, v16
	v_fmac_f32_e32 v23, 0x3f575c64, v30
	v_add_f32_e32 v3, v3, v17
	v_fma_f32 v29, 0x3f575c64, v34, -v29
	v_fma_f32 v42, 0x3ed4b147, v30, -v35
	v_add_f32_e32 v4, v4, v18
	v_fmamk_f32 v43, v34, 0x3ed4b147, v36
	v_add_f32_e32 v3, v3, v19
	v_fmac_f32_e32 v35, 0x3ed4b147, v30
	v_fma_f32 v36, 0x3ed4b147, v34, -v36
	v_add_f32_e32 v4, v4, v20
	v_fma_f32 v44, 0xbe11bafb, v30, -v37
	v_add_f32_e32 v3, v3, v21
	v_mul_f32_e32 v21, 0xbf4178ce, v32
	v_mul_f32_e32 v32, 0xbe903f40, v32
	v_add_f32_e32 v40, v1, v40
	v_add_f32_e32 v4, v4, v22
	v_fmac_f32_e32 v37, 0xbe11bafb, v30
	v_fma_f32 v22, 0xbe11bafb, v34, -v38
	v_add_f32_e32 v38, v2, v45
	v_fma_f32 v45, 0xbf27a4f4, v30, -v39
	v_fmamk_f32 v46, v34, 0xbf27a4f4, v21
	v_fmac_f32_e32 v39, 0xbf27a4f4, v30
	v_fma_f32 v21, 0xbf27a4f4, v34, -v21
	v_fma_f32 v47, 0xbf75a155, v30, -v31
	v_fmamk_f32 v49, v34, 0xbf75a155, v32
	v_fmac_f32_e32 v31, 0xbf75a155, v30
	v_fma_f32 v19, 0xbf75a155, v34, -v32
	v_add_f32_e32 v6, v20, v6
	v_fma_f32 v20, 0x3ed4b147, v50, -v51
	v_mul_f32_e32 v30, 0xbf68dda4, v5
	v_add_f32_e32 v41, v2, v41
	v_add_f32_e32 v23, v1, v23
	;; [unrolled: 1-line block ×19, first 2 shown]
	v_fmamk_f32 v20, v6, 0x3ed4b147, v30
	v_mul_f32_e32 v31, 0xbf4178ce, v48
	v_fma_f32 v30, 0x3ed4b147, v6, -v30
	v_mul_f32_e32 v34, 0xbf4178ce, v5
	v_mul_f32_e32 v49, 0x3f7d64f0, v5
	v_add_f32_e32 v20, v20, v41
	v_fma_f32 v40, 0xbf27a4f4, v50, -v31
	v_add_f32_e32 v29, v30, v29
	v_fmamk_f32 v30, v6, 0xbf27a4f4, v34
	v_mul_f32_e32 v41, 0x3e903f40, v48
	v_fmac_f32_e32 v31, 0xbf27a4f4, v50
	v_add_f32_e32 v40, v40, v42
	v_fma_f32 v34, 0xbf27a4f4, v6, -v34
	v_add_f32_e32 v30, v30, v43
	v_fma_f32 v42, 0xbf75a155, v50, -v41
	v_mul_f32_e32 v43, 0x3e903f40, v5
	v_add_f32_e32 v31, v31, v35
	v_add_f32_e32 v34, v34, v36
	v_mul_f32_e32 v35, 0x3f7d64f0, v48
	v_add_f32_e32 v36, v42, v44
	v_fmamk_f32 v42, v6, 0xbf75a155, v43
	v_fma_f32 v43, 0xbf75a155, v6, -v43
	v_fmac_f32_e32 v41, 0xbf75a155, v50
	v_fma_f32 v44, 0xbe11bafb, v50, -v35
	v_fmac_f32_e32 v35, 0xbe11bafb, v50
	v_add_f32_e32 v38, v42, v38
	v_add_f32_e32 v22, v43, v22
	v_mul_f32_e32 v43, 0x3f0a6770, v48
	v_add_f32_e32 v37, v41, v37
	v_add_f32_e32 v41, v44, v45
	v_fma_f32 v44, 0xbe11bafb, v6, -v49
	v_fmamk_f32 v42, v6, 0xbe11bafb, v49
	v_fma_f32 v45, 0x3f575c64, v50, -v43
	v_mul_f32_e32 v5, 0x3f0a6770, v5
	v_add_f32_e32 v35, v35, v39
	v_add_f32_e32 v21, v44, v21
	v_sub_f32_e32 v39, v8, v18
	v_add_f32_e32 v44, v45, v47
	v_add_f32_e32 v45, v17, v7
	v_sub_f32_e32 v7, v7, v17
	v_add_f32_e32 v42, v42, v46
	v_fmamk_f32 v46, v6, 0x3f575c64, v5
	v_mul_f32_e32 v17, 0xbf7d64f0, v39
	v_fmac_f32_e32 v43, 0x3f575c64, v50
	v_fma_f32 v5, 0x3f575c64, v6, -v5
	v_add_f32_e32 v6, v18, v8
	v_mul_f32_e32 v8, 0xbf7d64f0, v7
	v_fmac_f32_e32 v51, 0x3ed4b147, v50
	v_fma_f32 v18, 0xbe11bafb, v45, -v17
	v_add_f32_e32 v1, v43, v1
	v_add_f32_e32 v2, v5, v2
	v_mul_f32_e32 v5, 0x3e903f40, v39
	v_fmamk_f32 v43, v6, 0xbe11bafb, v8
	v_add_f32_e32 v23, v51, v23
	v_add_f32_e32 v18, v18, v19
	v_fmac_f32_e32 v17, 0xbe11bafb, v45
	v_fma_f32 v8, 0xbe11bafb, v6, -v8
	v_fma_f32 v19, 0xbf75a155, v45, -v5
	v_add_f32_e32 v20, v43, v20
	v_mul_f32_e32 v43, 0x3e903f40, v7
	v_add_f32_e32 v17, v17, v23
	v_add_f32_e32 v8, v8, v29
	;; [unrolled: 1-line block ×3, first 2 shown]
	v_mul_f32_e32 v23, 0x3f68dda4, v39
	v_fmamk_f32 v29, v6, 0xbf75a155, v43
	v_fmac_f32_e32 v5, 0xbf75a155, v45
	v_fma_f32 v40, 0xbf75a155, v6, -v43
	v_mul_f32_e32 v43, 0x3f68dda4, v7
	v_add_f32_e32 v32, v46, v32
	v_fma_f32 v46, 0x3ed4b147, v45, -v23
	v_add_f32_e32 v5, v5, v31
	v_add_f32_e32 v29, v29, v30
	v_fmamk_f32 v31, v6, 0x3ed4b147, v43
	v_add_f32_e32 v30, v40, v34
	v_add_f32_e32 v34, v46, v36
	v_mul_f32_e32 v36, 0xbf0a6770, v39
	v_fmac_f32_e32 v23, 0x3ed4b147, v45
	v_add_f32_e32 v31, v31, v38
	v_mul_f32_e32 v38, 0xbf0a6770, v7
	v_fma_f32 v40, 0x3ed4b147, v6, -v43
	v_fma_f32 v43, 0x3f575c64, v45, -v36
	v_add_f32_e32 v23, v23, v37
	v_mul_f32_e32 v37, 0xbf4178ce, v39
	v_fmamk_f32 v39, v6, 0x3f575c64, v38
	v_fma_f32 v38, 0x3f575c64, v6, -v38
	v_add_f32_e32 v22, v40, v22
	v_add_f32_e32 v40, v43, v41
	v_fmac_f32_e32 v36, 0x3f575c64, v45
	v_fma_f32 v41, 0xbf27a4f4, v45, -v37
	v_add_f32_e32 v39, v39, v42
	v_mul_f32_e32 v7, 0xbf4178ce, v7
	v_add_f32_e32 v21, v38, v21
	v_sub_f32_e32 v38, v10, v16
	v_sub_f32_e32 v42, v9, v15
	v_add_f32_e32 v35, v36, v35
	v_add_f32_e32 v36, v41, v44
	v_fmamk_f32 v41, v6, 0xbf27a4f4, v7
	v_fmac_f32_e32 v37, 0xbf27a4f4, v45
	v_add_f32_e32 v9, v15, v9
	v_mul_f32_e32 v15, 0xbf4178ce, v38
	v_fma_f32 v6, 0xbf27a4f4, v6, -v7
	v_add_f32_e32 v7, v16, v10
	v_mul_f32_e32 v10, 0xbf4178ce, v42
	v_add_f32_e32 v16, v41, v32
	v_fma_f32 v32, 0xbf27a4f4, v9, -v15
	v_add_f32_e32 v1, v37, v1
	v_add_f32_e32 v2, v6, v2
	v_fmamk_f32 v6, v7, 0xbf27a4f4, v10
	v_mul_f32_e32 v37, 0x3f7d64f0, v38
	v_fma_f32 v10, 0xbf27a4f4, v7, -v10
	v_add_f32_e32 v18, v32, v18
	v_fmac_f32_e32 v15, 0xbf27a4f4, v9
	v_add_f32_e32 v6, v6, v20
	v_fma_f32 v20, 0xbe11bafb, v9, -v37
	v_mul_f32_e32 v32, 0x3f7d64f0, v42
	v_add_f32_e32 v8, v10, v8
	v_mul_f32_e32 v10, 0xbf0a6770, v38
	v_add_f32_e32 v15, v15, v17
	v_add_f32_e32 v17, v20, v19
	v_fmamk_f32 v19, v7, 0xbe11bafb, v32
	v_fmac_f32_e32 v37, 0xbe11bafb, v9
	v_fma_f32 v20, 0xbe11bafb, v7, -v32
	v_fma_f32 v32, 0x3f575c64, v9, -v10
	v_mul_f32_e32 v41, 0xbf0a6770, v42
	v_add_f32_e32 v19, v19, v29
	v_add_f32_e32 v29, v37, v5
	;; [unrolled: 1-line block ×4, first 2 shown]
	v_fmamk_f32 v5, v7, 0x3f575c64, v41
	v_mul_f32_e32 v20, 0xbe903f40, v38
	v_fmac_f32_e32 v10, 0x3f575c64, v9
	v_fma_f32 v34, 0x3f575c64, v7, -v41
	v_mul_f32_e32 v37, 0xbe903f40, v42
	v_add_f32_e32 v31, v5, v31
	v_fma_f32 v5, 0xbf75a155, v9, -v20
	v_add_f32_e32 v23, v10, v23
	v_add_f32_e32 v22, v34, v22
	v_fmamk_f32 v10, v7, 0xbf75a155, v37
	v_mul_f32_e32 v34, 0x3f68dda4, v38
	v_add_f32_e32 v38, v5, v40
	v_fma_f32 v5, 0xbf75a155, v7, -v37
	v_sub_f32_e32 v41, v12, v14
	v_add_f32_e32 v37, v10, v39
	v_fma_f32 v10, 0x3ed4b147, v9, -v34
	v_mul_f32_e32 v39, 0x3f68dda4, v42
	v_sub_f32_e32 v43, v11, v13
	v_fmac_f32_e32 v20, 0xbf75a155, v9
	v_add_f32_e32 v40, v5, v21
	v_add_f32_e32 v36, v10, v36
	v_fmamk_f32 v5, v7, 0x3ed4b147, v39
	v_add_f32_e32 v42, v13, v11
	v_mul_f32_e32 v10, 0xbe903f40, v41
	v_fmac_f32_e32 v34, 0x3ed4b147, v9
	v_fma_f32 v7, 0x3ed4b147, v7, -v39
	v_add_f32_e32 v39, v14, v12
	v_mul_f32_e32 v9, 0xbe903f40, v43
	v_fma_f32 v11, 0xbf75a155, v42, -v10
	v_add_f32_e32 v44, v5, v16
	v_add_f32_e32 v45, v7, v2
	v_mul_f32_e32 v7, 0x3f0a6770, v41
	v_fmamk_f32 v2, v39, 0xbf75a155, v9
	v_add_f32_e32 v34, v34, v1
	v_add_f32_e32 v1, v11, v18
	v_fmac_f32_e32 v10, 0xbf75a155, v42
	v_fma_f32 v5, 0xbf75a155, v39, -v9
	v_add_f32_e32 v2, v2, v6
	v_mul_f32_e32 v6, 0x3f0a6770, v43
	v_fma_f32 v9, 0x3f575c64, v42, -v7
	v_mul_f32_e32 v11, 0xbf4178ce, v41
	v_add_f32_e32 v35, v20, v35
	v_add_f32_e32 v20, v10, v15
	;; [unrolled: 1-line block ×3, first 2 shown]
	v_fmamk_f32 v8, v39, 0x3f575c64, v6
	v_add_f32_e32 v5, v9, v17
	v_fma_f32 v9, 0x3f575c64, v39, -v6
	v_fma_f32 v10, 0xbf27a4f4, v42, -v11
	v_mul_f32_e32 v12, 0xbf4178ce, v43
	v_add_f32_e32 v6, v8, v19
	v_mul_f32_e32 v19, 0xbf7d64f0, v41
	v_add_f32_e32 v8, v9, v30
	v_add_f32_e32 v9, v10, v32
	v_fmamk_f32 v10, v39, 0xbf27a4f4, v12
	v_fma_f32 v12, 0xbf27a4f4, v39, -v12
	v_mul_f32_e32 v17, 0xbf7d64f0, v43
	v_mul_f32_e32 v15, 0x3f68dda4, v41
	;; [unrolled: 1-line block ×3, first 2 shown]
	v_fmac_f32_e32 v11, 0xbf27a4f4, v42
	v_add_f32_e32 v12, v12, v22
	v_fma_f32 v18, 0xbe11bafb, v42, -v19
	v_fmamk_f32 v22, v39, 0xbe11bafb, v17
	v_fma_f32 v13, 0x3ed4b147, v42, -v15
	v_fmamk_f32 v14, v39, 0x3ed4b147, v16
	v_fmac_f32_e32 v7, 0x3f575c64, v42
	v_add_f32_e32 v11, v11, v23
	v_fmac_f32_e32 v15, 0x3ed4b147, v42
	v_fma_f32 v16, 0x3ed4b147, v39, -v16
	v_fmac_f32_e32 v19, 0xbe11bafb, v42
	v_fma_f32 v23, 0xbe11bafb, v39, -v17
	v_add_f32_e32 v17, v18, v36
	v_add_f32_e32 v18, v22, v44
	v_mad_u32_u24 v22, 0x50, v28, v33
	v_add_f32_e32 v10, v10, v31
	v_add_f32_e32 v13, v13, v38
	;; [unrolled: 1-line block ×8, first 2 shown]
	ds_write2_b64 v22, v[3:4], v[1:2] offset1:1
	ds_write2_b64 v22, v[5:6], v[9:10] offset0:2 offset1:3
	ds_write2_b64 v22, v[13:14], v[17:18] offset0:4 offset1:5
	;; [unrolled: 1-line block ×4, first 2 shown]
	ds_write_b64 v22, v[20:21] offset:80
	v_add_nc_u32_e32 v1, 0x1300, v33
	v_add_nc_u32_e32 v2, 0x1e00, v33
	;; [unrolled: 1-line block ×3, first 2 shown]
	s_waitcnt lgkmcnt(0)
	s_barrier
	buffer_gl0_inv
	ds_read2_b64 v[12:15], v33 offset1:154
	ds_read2_b64 v[4:7], v1 offset0:8 offset1:239
	ds_read2_b64 v[16:19], v2 offset0:41 offset1:195
	;; [unrolled: 1-line block ×4, first 2 shown]
                                        ; implicit-def: $vgpr23
	s_and_saveexec_b32 s1, s0
	s_cbranch_execz .LBB0_23
; %bb.22:
	v_mad_i32_i24 v20, 0xffffffb0, v28, v22
	ds_read_b64 v[20:21], v20 offset:6160
	ds_read_b64 v[22:23], v33 offset:12936
.LBB0_23:
	s_or_b32 exec_lo, exec_lo, s1
	v_and_b32_e32 v29, 0xff, v28
	v_add_nc_u32_e32 v31, 0x268, v28
	v_mov_b32_e32 v32, 0xba2f
	v_add_nc_u32_e32 v36, 0x302, v28
	v_add_nc_u32_e32 v34, 0x9a, v28
	v_mul_lo_u16 v29, 0x75, v29
	v_add_nc_u32_e32 v39, 0x134, v28
	v_add_nc_u32_e32 v40, 0x1ce, v28
	v_mul_u32_u24_sdwa v37, v36, v32 dst_sel:DWORD dst_unused:UNUSED_PAD src0_sel:WORD_0 src1_sel:DWORD
	v_mul_u32_u24_sdwa v41, v34, v32 dst_sel:DWORD dst_unused:UNUSED_PAD src0_sel:WORD_0 src1_sel:DWORD
	v_lshrrev_b16 v35, 8, v29
	v_mul_u32_u24_sdwa v29, v31, v32 dst_sel:DWORD dst_unused:UNUSED_PAD src0_sel:WORD_0 src1_sel:DWORD
	v_mul_u32_u24_sdwa v43, v39, v32 dst_sel:DWORD dst_unused:UNUSED_PAD src0_sel:WORD_0 src1_sel:DWORD
	;; [unrolled: 1-line block ×3, first 2 shown]
	v_lshrrev_b32_e32 v48, 19, v41
	v_sub_nc_u16 v30, v28, v35
	v_lshrrev_b32_e32 v47, 19, v29
	v_lshrrev_b32_e32 v51, 19, v43
	v_mov_b32_e32 v29, 3
	v_lshrrev_b32_e32 v32, 19, v32
	v_lshrrev_b16 v38, 1, v30
	v_lshrrev_b32_e32 v30, 19, v37
	v_mul_lo_u16 v37, v47, 11
	v_mul_lo_u16 v43, v51, 11
	v_mul_lo_u16 v44, v32, 11
	v_and_b32_e32 v38, 0x7f, v38
	v_mul_lo_u16 v42, v30, 11
	v_sub_nc_u16 v31, v31, v37
	v_sub_nc_u16 v39, v39, v43
	v_mul_u32_u24_e32 v47, 0xb0, v47
	v_add_nc_u16 v35, v38, v35
	v_sub_nc_u16 v36, v36, v42
	v_lshlrev_b32_sdwa v49, v29, v31 dst_sel:DWORD dst_unused:UNUSED_PAD src0_sel:DWORD src1_sel:WORD_0
	v_mul_lo_u16 v42, v48, 11
	v_lshlrev_b32_sdwa v54, v29, v39 dst_sel:DWORD dst_unused:UNUSED_PAD src0_sel:DWORD src1_sel:WORD_0
	v_lshrrev_b16 v50, 3, v35
	v_lshlrev_b32_sdwa v31, v29, v36 dst_sel:DWORD dst_unused:UNUSED_PAD src0_sel:DWORD src1_sel:WORD_0
	global_load_dwordx2 v[35:36], v49, s[12:13]
	v_sub_nc_u16 v42, v34, v42
	v_mov_b32_e32 v56, 0xb0
	v_mul_lo_u16 v41, v50, 11
	v_mul_u32_u24_e32 v48, 0xb0, v48
	v_add3_u32 v47, 0, v47, v49
	v_lshlrev_b32_sdwa v53, v29, v42 dst_sel:DWORD dst_unused:UNUSED_PAD src0_sel:DWORD src1_sel:WORD_0
	v_mul_u32_u24_e32 v51, 0xb0, v51
	v_sub_nc_u16 v41, v28, v41
	v_mul_u32_u24_e32 v32, 0xb0, v32
	v_add3_u32 v48, 0, v48, v53
	v_add3_u32 v51, 0, v51, v54
	v_lshlrev_b32_sdwa v52, v29, v41 dst_sel:DWORD dst_unused:UNUSED_PAD src0_sel:DWORD src1_sel:BYTE_0
	v_sub_nc_u16 v41, v40, v44
	s_clause 0x1
	global_load_dwordx2 v[39:40], v52, s[12:13]
	global_load_dwordx2 v[37:38], v31, s[12:13]
	v_lshlrev_b32_sdwa v55, v29, v41 dst_sel:DWORD dst_unused:UNUSED_PAD src0_sel:DWORD src1_sel:WORD_0
	s_clause 0x2
	global_load_dwordx2 v[41:42], v53, s[12:13]
	global_load_dwordx2 v[43:44], v54, s[12:13]
	;; [unrolled: 1-line block ×3, first 2 shown]
	v_mul_u32_u24_sdwa v49, v50, v56 dst_sel:DWORD dst_unused:UNUSED_PAD src0_sel:WORD_0 src1_sel:DWORD
	v_add3_u32 v32, 0, v32, v55
	s_waitcnt vmcnt(0) lgkmcnt(0)
	s_barrier
	buffer_gl0_inv
	v_mul_f32_e32 v50, v36, v3
	v_mul_f32_e32 v36, v36, v2
	v_fma_f32 v2, v35, v2, -v50
	v_fmac_f32_e32 v36, v35, v3
	v_add3_u32 v35, 0, v49, v52
	v_mul_f32_e32 v53, v23, v38
	v_mul_f32_e32 v38, v22, v38
	;; [unrolled: 1-line block ×3, first 2 shown]
	v_fma_f32 v3, v22, v37, -v53
	v_fmac_f32_e32 v38, v23, v37
	v_sub_f32_e32 v23, v5, v36
	v_mul_f32_e32 v36, v40, v7
	v_mul_f32_e32 v37, v40, v6
	v_sub_f32_e32 v22, v4, v2
	v_sub_f32_e32 v2, v20, v3
	;; [unrolled: 1-line block ×3, first 2 shown]
	v_mul_f32_e32 v38, v42, v17
	v_mul_f32_e32 v40, v42, v16
	;; [unrolled: 1-line block ×5, first 2 shown]
	v_fma_f32 v6, v39, v6, -v36
	v_fmac_f32_e32 v37, v39, v7
	v_fma_f32 v7, v41, v16, -v38
	v_fmac_f32_e32 v40, v41, v17
	;; [unrolled: 2-line block ×4, first 2 shown]
	v_sub_f32_e32 v0, v12, v6
	v_sub_f32_e32 v1, v13, v37
	;; [unrolled: 1-line block ×8, first 2 shown]
	v_fma_f32 v12, v12, 2.0, -v0
	v_fma_f32 v13, v13, 2.0, -v1
	;; [unrolled: 1-line block ×10, first 2 shown]
	ds_write2_b64 v35, v[12:13], v[0:1] offset1:11
	ds_write2_b64 v48, v[14:15], v[6:7] offset1:11
	;; [unrolled: 1-line block ×5, first 2 shown]
	s_and_saveexec_b32 s1, s0
	s_cbranch_execz .LBB0_25
; %bb.24:
	v_mul_lo_u16 v0, v30, 22
	v_fma_f32 v1, v21, 2.0, -v3
	v_lshlrev_b32_sdwa v4, v29, v0 dst_sel:DWORD dst_unused:UNUSED_PAD src0_sel:DWORD src1_sel:WORD_0
	v_fma_f32 v0, v20, 2.0, -v2
	v_add3_u32 v4, 0, v31, v4
	ds_write2_b64 v4, v[0:1], v[2:3] offset1:11
.LBB0_25:
	s_or_b32 exec_lo, exec_lo, s1
	v_lshrrev_b16 v0, 1, v28
	v_mov_b32_e32 v4, 10
	s_waitcnt lgkmcnt(0)
	s_barrier
	buffer_gl0_inv
	v_and_b32_e32 v0, 0x7f, v0
	v_add_nc_u32_e32 v8, 0x800, v33
	v_add_nc_u32_e32 v9, 0x1200, v33
	v_mov_b32_e32 v10, 0x790
	v_cmp_gt_u32_e64 s0, 0x58, v28
	v_mul_lo_u16 v0, 0xbb, v0
	v_lshrrev_b16 v0, 11, v0
	v_mul_lo_u16 v1, v0, 22
	v_mul_u32_u24_sdwa v0, v0, v10 dst_sel:DWORD dst_unused:UNUSED_PAD src0_sel:WORD_0 src1_sel:DWORD
	v_sub_nc_u16 v1, v28, v1
	v_mul_u32_u24_sdwa v4, v1, v4 dst_sel:DWORD dst_unused:UNUSED_PAD src0_sel:BYTE_0 src1_sel:DWORD
	v_lshlrev_b32_sdwa v1, v29, v1 dst_sel:DWORD dst_unused:UNUSED_PAD src0_sel:DWORD src1_sel:BYTE_0
	v_lshlrev_b32_e32 v4, 3, v4
	s_clause 0x4
	global_load_dwordx4 v[15:18], v4, s[12:13] offset:88
	global_load_dwordx4 v[19:22], v4, s[12:13] offset:104
	;; [unrolled: 1-line block ×5, first 2 shown]
	ds_read2_b64 v[4:7], v33 offset1:154
	ds_read2_b64 v[47:50], v8 offset0:52 offset1:206
	v_add_nc_u32_e32 v8, 0x1c00, v33
	ds_read2_b64 v[51:54], v9 offset0:40 offset1:194
	v_add_nc_u32_e32 v9, 0x2400, v33
	ds_read2_b64 v[55:58], v8 offset0:28 offset1:182
	ds_read2_b64 v[59:62], v9 offset0:80 offset1:234
	ds_read_b64 v[29:30], v33 offset:12320
	v_add3_u32 v8, 0, v0, v1
	s_waitcnt vmcnt(0) lgkmcnt(0)
	s_barrier
	buffer_gl0_inv
	v_mul_f32_e32 v11, v16, v7
	v_mul_f32_e32 v23, v16, v6
	;; [unrolled: 1-line block ×20, first 2 shown]
	v_fma_f32 v46, v15, v6, -v11
	v_fmac_f32_e32 v23, v15, v7
	v_fma_f32 v47, v17, v47, -v12
	v_fmac_f32_e32 v18, v17, v48
	;; [unrolled: 2-line block ×4, first 2 shown]
	v_fma_f32 v17, v35, v53, -v22
	v_fma_f32 v11, v29, v45, -v44
	v_fmac_f32_e32 v9, v30, v45
	v_fmac_f32_e32 v10, v62, v43
	v_add_f32_e32 v21, v46, v4
	v_add_f32_e32 v22, v23, v5
	v_fmac_f32_e32 v14, v35, v54
	v_fma_f32 v15, v55, v37, -v36
	v_fmac_f32_e32 v13, v56, v37
	v_fma_f32 v7, v57, v39, -v38
	;; [unrolled: 2-line block ×4, first 2 shown]
	v_add_f32_e32 v30, v23, v9
	v_sub_f32_e32 v32, v46, v11
	v_sub_f32_e32 v23, v23, v9
	v_add_f32_e32 v36, v18, v10
	v_sub_f32_e32 v38, v18, v10
	v_add_f32_e32 v21, v21, v47
	v_add_f32_e32 v18, v22, v18
	;; [unrolled: 1-line block ×4, first 2 shown]
	v_sub_f32_e32 v37, v47, v12
	v_sub_f32_e32 v39, v20, v0
	;; [unrolled: 1-line block ×6, first 2 shown]
	v_mul_f32_e32 v22, 0xbf0a6770, v23
	v_mul_f32_e32 v47, 0xbf0a6770, v32
	;; [unrolled: 1-line block ×10, first 2 shown]
	v_add_f32_e32 v21, v21, v31
	v_add_f32_e32 v18, v18, v20
	;; [unrolled: 1-line block ×7, first 2 shown]
	v_sub_f32_e32 v50, v17, v15
	v_mul_f32_e32 v58, 0xbf68dda4, v38
	v_mul_f32_e32 v59, 0xbf68dda4, v37
	;; [unrolled: 1-line block ×35, first 2 shown]
	v_fma_f32 v89, 0x3f575c64, v29, -v22
	v_fmamk_f32 v90, v30, 0x3f575c64, v47
	v_fmac_f32_e32 v22, 0x3f575c64, v29
	v_fma_f32 v47, 0x3f575c64, v30, -v47
	v_fma_f32 v91, 0x3ed4b147, v29, -v52
	v_fmamk_f32 v92, v30, 0x3ed4b147, v53
	v_fmac_f32_e32 v52, 0x3ed4b147, v29
	v_fma_f32 v53, 0x3ed4b147, v30, -v53
	;; [unrolled: 4-line block ×4, first 2 shown]
	v_fma_f32 v97, 0xbf75a155, v29, -v23
	v_fmac_f32_e32 v23, 0xbf75a155, v29
	v_fmamk_f32 v29, v30, 0xbf75a155, v32
	v_fma_f32 v30, 0xbf75a155, v30, -v32
	v_add_f32_e32 v19, v21, v19
	v_add_f32_e32 v16, v18, v16
	;; [unrolled: 1-line block ×3, first 2 shown]
	v_mul_f32_e32 v86, 0xbe903f40, v50
	v_mul_f32_e32 v87, 0x3f0a6770, v50
	;; [unrolled: 1-line block ×3, first 2 shown]
	v_fma_f32 v32, 0x3ed4b147, v35, -v58
	v_fmac_f32_e32 v58, 0x3ed4b147, v35
	v_fma_f32 v98, 0xbf27a4f4, v35, -v60
	v_fmac_f32_e32 v60, 0xbf27a4f4, v35
	v_fma_f32 v99, 0xbf75a155, v35, -v61
	v_fmac_f32_e32 v61, 0xbf75a155, v35
	v_fma_f32 v100, 0xbe11bafb, v35, -v62
	v_fmac_f32_e32 v62, 0xbe11bafb, v35
	v_fma_f32 v101, 0x3f575c64, v35, -v38
	v_fmac_f32_e32 v38, 0x3f575c64, v35
	v_fmamk_f32 v102, v36, 0x3ed4b147, v59
	v_fma_f32 v59, 0x3ed4b147, v36, -v59
	v_fmamk_f32 v103, v36, 0xbf27a4f4, v63
	v_fma_f32 v63, 0xbf27a4f4, v36, -v63
	v_fmamk_f32 v104, v36, 0xbf75a155, v64
	v_fma_f32 v64, 0xbf75a155, v36, -v64
	v_fmamk_f32 v105, v36, 0xbe11bafb, v65
	v_fma_f32 v65, 0xbe11bafb, v36, -v65
	v_fmamk_f32 v106, v36, 0x3f575c64, v37
	v_fma_f32 v37, 0x3f575c64, v36, -v37
	v_fma_f32 v107, 0xbe11bafb, v40, -v66
	v_fmac_f32_e32 v66, 0xbe11bafb, v40
	v_fma_f32 v108, 0xbf75a155, v40, -v67
	v_fmac_f32_e32 v67, 0xbf75a155, v40
	v_fma_f32 v109, 0x3ed4b147, v40, -v68
	v_fmac_f32_e32 v68, 0x3ed4b147, v40
	v_fma_f32 v110, 0x3f575c64, v40, -v69
	v_fmac_f32_e32 v69, 0x3f575c64, v40
	v_fma_f32 v111, 0xbf27a4f4, v40, -v39
	v_fmac_f32_e32 v39, 0xbf27a4f4, v40
	v_fmamk_f32 v20, v42, 0xbe11bafb, v70
	v_fma_f32 v31, 0xbe11bafb, v42, -v70
	v_fmamk_f32 v40, v42, 0xbf75a155, v71
	v_fma_f32 v70, 0xbf75a155, v42, -v71
	v_fmamk_f32 v71, v42, 0x3ed4b147, v72
	v_fma_f32 v72, 0x3ed4b147, v42, -v72
	v_fmamk_f32 v112, v42, 0x3f575c64, v73
	v_fma_f32 v73, 0x3f575c64, v42, -v73
	v_fmamk_f32 v113, v42, 0xbf27a4f4, v41
	v_fma_f32 v41, 0xbf27a4f4, v42, -v41
	;; [unrolled: 20-line block ×3, first 2 shown]
	v_fma_f32 v46, 0xbf75a155, v49, -v82
	v_fmac_f32_e32 v82, 0xbf75a155, v49
	v_fma_f32 v122, 0x3f575c64, v49, -v83
	v_fmac_f32_e32 v83, 0x3f575c64, v49
	;; [unrolled: 2-line block ×5, first 2 shown]
	v_mul_f32_e32 v35, 0x3f68dda4, v50
	v_mul_f32_e32 v36, 0xbf7d64f0, v50
	v_add_f32_e32 v49, v89, v4
	v_add_f32_e32 v50, v90, v5
	;; [unrolled: 1-line block ×66, first 2 shown]
	v_fmamk_f32 v23, v51, 0xbf75a155, v86
	v_add_f32_e32 v13, v42, v14
	v_add_f32_e32 v14, v44, v16
	v_add_f32_e32 v16, v78, v18
	v_add_f32_e32 v18, v118, v20
	v_add_f32_e32 v20, v79, v22
	v_add_f32_e32 v22, v119, v32
	v_add_f32_e32 v32, v80, v38
	v_add_f32_e32 v38, v120, v47
	v_add_f32_e32 v44, v45, v5
	v_add_f32_e32 v45, v7, v6
	v_add_f32_e32 v47, v1, v0
	v_fma_f32 v30, 0xbf75a155, v51, -v86
	v_fmamk_f32 v86, v51, 0x3f575c64, v87
	v_fma_f32 v87, 0x3f575c64, v51, -v87
	v_fmamk_f32 v96, v51, 0xbf27a4f4, v88
	v_fmamk_f32 v97, v51, 0x3ed4b147, v35
	;; [unrolled: 1-line block ×3, first 2 shown]
	v_add_f32_e32 v15, v74, v17
	v_add_f32_e32 v17, v114, v19
	v_add_f32_e32 v19, v75, v21
	v_add_f32_e32 v21, v115, v31
	v_add_f32_e32 v31, v76, v37
	v_add_f32_e32 v37, v116, v40
	v_add_f32_e32 v41, v117, v52
	v_add_f32_e32 v42, v121, v29
	v_fma_f32 v88, 0xbf27a4f4, v51, -v88
	v_fma_f32 v126, 0x3ed4b147, v51, -v35
	;; [unrolled: 1-line block ×3, first 2 shown]
	v_add_f32_e32 v39, v77, v49
	v_add_f32_e32 v40, v81, v50
	;; [unrolled: 1-line block ×18, first 2 shown]
	v_add_nc_u32_e32 v35, 0xf00, v33
	v_add_f32_e32 v6, v84, v31
	v_add_f32_e32 v7, v88, v32
	;; [unrolled: 1-line block ×6, first 2 shown]
	v_add_nc_u32_e32 v36, 0x1e00, v33
	v_add_f32_e32 v13, v46, v13
	v_add_f32_e32 v10, v12, v11
	;; [unrolled: 1-line block ×3, first 2 shown]
	ds_write2_b64 v8, v[15:16], v[17:18] offset0:44 offset1:66
	ds_write2_b64 v8, v[19:20], v[21:22] offset0:88 offset1:110
	;; [unrolled: 1-line block ×4, first 2 shown]
	ds_write_b64 v8, v[0:1] offset:1760
	ds_write2_b64 v8, v[10:11], v[13:14] offset1:22
	s_waitcnt lgkmcnt(0)
	s_barrier
	buffer_gl0_inv
	ds_read2_b64 v[12:15], v33 offset1:242
	ds_read2_b64 v[20:23], v35 offset0:4 offset1:246
	ds_read2_b64 v[16:19], v36 offset0:8 offset1:250
	ds_read_b64 v[31:32], v33 offset:11616
                                        ; implicit-def: $vgpr11
	s_and_saveexec_b32 s1, s0
	s_cbranch_execz .LBB0_27
; %bb.26:
	v_add_nc_u32_e32 v0, 0x480, v33
	v_add_nc_u32_e32 v1, 0x1000, v33
	;; [unrolled: 1-line block ×4, first 2 shown]
	ds_read2_b64 v[4:7], v0 offset0:10 offset1:252
	ds_read2_b32 v[29:30], v1 offset0:252 offset1:253
	ds_read2_b64 v[0:3], v2 offset1:242
	ds_read2_b64 v[8:11], v8 offset0:4 offset1:246
.LBB0_27:
	s_or_b32 exec_lo, exec_lo, s1
	v_mul_u32_u24_e32 v37, 6, v28
	v_lshlrev_b32_e32 v45, 3, v37
	s_clause 0x2
	global_load_dwordx4 v[37:40], v45, s[12:13] offset:1848
	global_load_dwordx4 v[41:44], v45, s[12:13] offset:1864
	;; [unrolled: 1-line block ×3, first 2 shown]
	s_waitcnt vmcnt(0) lgkmcnt(0)
	s_barrier
	buffer_gl0_inv
	v_mul_f32_e32 v49, v38, v15
	v_mul_f32_e32 v38, v38, v14
	;; [unrolled: 1-line block ×12, first 2 shown]
	v_fma_f32 v14, v37, v14, -v49
	v_fmac_f32_e32 v38, v37, v15
	v_fma_f32 v15, v39, v20, -v50
	v_fmac_f32_e32 v40, v39, v21
	;; [unrolled: 2-line block ×3, first 2 shown]
	v_fmac_f32_e32 v44, v43, v17
	v_fma_f32 v17, v45, v18, -v53
	v_fmac_f32_e32 v46, v45, v19
	v_fma_f32 v20, v41, v22, -v51
	;; [unrolled: 2-line block ×3, first 2 shown]
	v_add_f32_e32 v18, v14, v21
	v_add_f32_e32 v19, v38, v48
	;; [unrolled: 1-line block ×4, first 2 shown]
	v_sub_f32_e32 v14, v14, v21
	v_sub_f32_e32 v21, v38, v48
	v_sub_f32_e32 v15, v15, v17
	v_sub_f32_e32 v17, v40, v46
	v_add_f32_e32 v31, v20, v16
	v_add_f32_e32 v32, v42, v44
	v_sub_f32_e32 v16, v16, v20
	v_sub_f32_e32 v20, v44, v42
	v_add_f32_e32 v37, v22, v18
	v_add_f32_e32 v38, v23, v19
	v_sub_f32_e32 v39, v22, v18
	v_sub_f32_e32 v40, v23, v19
	v_sub_f32_e32 v18, v18, v31
	v_sub_f32_e32 v19, v19, v32
	v_sub_f32_e32 v22, v31, v22
	v_sub_f32_e32 v23, v32, v23
	v_add_f32_e32 v41, v16, v15
	v_add_f32_e32 v42, v20, v17
	v_sub_f32_e32 v43, v16, v15
	v_sub_f32_e32 v44, v20, v17
	;; [unrolled: 1-line block ×3, first 2 shown]
	v_add_f32_e32 v31, v31, v37
	v_add_f32_e32 v32, v32, v38
	v_sub_f32_e32 v17, v17, v21
	v_sub_f32_e32 v16, v14, v16
	;; [unrolled: 1-line block ×3, first 2 shown]
	v_add_f32_e32 v14, v41, v14
	v_add_f32_e32 v21, v42, v21
	v_mul_f32_e32 v18, 0x3f4a47b2, v18
	v_mul_f32_e32 v19, 0x3f4a47b2, v19
	;; [unrolled: 1-line block ×7, first 2 shown]
	v_add_f32_e32 v12, v31, v12
	v_add_f32_e32 v13, v32, v13
	v_mul_f32_e32 v44, 0x3f5ff5aa, v17
	v_fmamk_f32 v22, v22, 0x3d64c772, v18
	v_fmamk_f32 v23, v23, 0x3d64c772, v19
	v_fma_f32 v37, 0x3f3bfb3b, v39, -v37
	v_fma_f32 v38, 0x3f3bfb3b, v40, -v38
	v_fma_f32 v18, 0xbf3bfb3b, v39, -v18
	v_fma_f32 v19, 0xbf3bfb3b, v40, -v19
	v_fmamk_f32 v39, v16, 0x3eae86e6, v41
	v_fmamk_f32 v40, v20, 0x3eae86e6, v42
	v_fma_f32 v41, 0x3f5ff5aa, v15, -v41
	v_fma_f32 v43, 0xbeae86e6, v16, -v43
	v_fmamk_f32 v15, v31, 0xbf955555, v12
	v_fmamk_f32 v16, v32, 0xbf955555, v13
	v_fma_f32 v42, 0x3f5ff5aa, v17, -v42
	v_fma_f32 v44, 0xbeae86e6, v20, -v44
	v_fmac_f32_e32 v39, 0x3ee1c552, v14
	v_fmac_f32_e32 v40, 0x3ee1c552, v21
	v_add_f32_e32 v31, v22, v15
	v_add_f32_e32 v32, v23, v16
	v_fmac_f32_e32 v41, 0x3ee1c552, v14
	v_fmac_f32_e32 v42, 0x3ee1c552, v21
	v_fmac_f32_e32 v43, 0x3ee1c552, v14
	v_fmac_f32_e32 v44, 0x3ee1c552, v21
	v_add_f32_e32 v20, v37, v15
	v_add_f32_e32 v22, v18, v15
	;; [unrolled: 1-line block ×5, first 2 shown]
	v_sub_f32_e32 v15, v32, v39
	v_add_f32_e32 v16, v44, v22
	v_sub_f32_e32 v17, v23, v43
	v_sub_f32_e32 v18, v20, v42
	v_add_f32_e32 v19, v41, v21
	v_add_f32_e32 v20, v42, v20
	v_sub_f32_e32 v21, v21, v41
	v_sub_f32_e32 v22, v22, v44
	v_add_f32_e32 v23, v43, v23
	v_sub_f32_e32 v31, v31, v40
	v_add_f32_e32 v32, v39, v32
	ds_write2_b64 v33, v[12:13], v[14:15] offset1:242
	ds_write2_b64 v35, v[16:17], v[18:19] offset0:4 offset1:246
	ds_write2_b64 v36, v[20:21], v[22:23] offset0:8 offset1:250
	ds_write_b64 v33, v[31:32] offset:11616
	s_and_saveexec_b32 s1, s0
	s_cbranch_execz .LBB0_29
; %bb.28:
	v_add_nc_u32_e32 v12, 0xffffffa8, v28
	v_mov_b32_e32 v13, 0
	v_add_nc_u32_e32 v31, 0x480, v33
	v_add_nc_u32_e32 v32, 0x13c0, v33
	v_cndmask_b32_e64 v12, v12, v34, s0
	v_add_nc_u32_e32 v34, 0x2300, v33
	v_mul_i32_i24_e32 v12, 6, v12
	v_lshlrev_b64 v[12:13], 3, v[12:13]
	v_add_co_u32 v20, s0, s12, v12
	v_add_co_ci_u32_e64 v21, s0, s13, v13, s0
	s_clause 0x2
	global_load_dwordx4 v[12:15], v[20:21], off offset:1848
	global_load_dwordx4 v[16:19], v[20:21], off offset:1880
	global_load_dwordx4 v[20:23], v[20:21], off offset:1864
	s_waitcnt vmcnt(2)
	v_mul_f32_e32 v35, v7, v13
	s_waitcnt vmcnt(1)
	v_mul_f32_e32 v36, v11, v19
	;; [unrolled: 2-line block ×3, first 2 shown]
	v_mul_f32_e32 v38, v1, v21
	v_mul_f32_e32 v39, v30, v15
	;; [unrolled: 1-line block ×9, first 2 shown]
	v_fma_f32 v6, v6, v12, -v35
	v_fma_f32 v10, v10, v18, -v36
	;; [unrolled: 1-line block ×6, first 2 shown]
	v_fmac_f32_e32 v19, v11, v18
	v_fmac_f32_e32 v13, v7, v12
	;; [unrolled: 1-line block ×6, first 2 shown]
	v_sub_f32_e32 v1, v6, v10
	v_sub_f32_e32 v3, v2, v0
	v_add_f32_e32 v9, v13, v19
	v_add_f32_e32 v11, v21, v23
	;; [unrolled: 1-line block ×6, first 2 shown]
	v_sub_f32_e32 v7, v29, v8
	v_sub_f32_e32 v8, v13, v19
	;; [unrolled: 1-line block ×5, first 2 shown]
	v_add_f32_e32 v18, v12, v9
	v_sub_f32_e32 v19, v6, v0
	v_add_f32_e32 v21, v2, v6
	v_sub_f32_e32 v14, v1, v3
	v_sub_f32_e32 v15, v3, v7
	v_add_f32_e32 v3, v3, v7
	v_sub_f32_e32 v17, v11, v12
	v_sub_f32_e32 v20, v0, v2
	;; [unrolled: 1-line block ×4, first 2 shown]
	v_add_f32_e32 v10, v10, v13
	v_sub_f32_e32 v7, v7, v1
	v_sub_f32_e32 v2, v2, v6
	;; [unrolled: 1-line block ×3, first 2 shown]
	v_mul_f32_e32 v13, 0x3f4a47b2, v16
	v_add_f32_e32 v11, v11, v18
	v_mul_f32_e32 v16, 0x3f4a47b2, v19
	v_add_f32_e32 v19, v0, v21
	v_sub_f32_e32 v9, v12, v9
	v_mul_f32_e32 v12, 0xbf08b237, v15
	v_add_f32_e32 v3, v3, v1
	v_mul_f32_e32 v15, 0x3d64c772, v17
	v_mul_f32_e32 v21, 0xbf08b237, v23
	v_add_f32_e32 v8, v10, v8
	v_mul_f32_e32 v10, 0x3f5ff5aa, v7
	v_mul_f32_e32 v23, 0x3f5ff5aa, v6
	v_add_f32_e32 v1, v5, v11
	v_add_f32_e32 v0, v4, v19
	v_mul_f32_e32 v18, 0x3d64c772, v20
	v_fmamk_f32 v29, v14, 0x3eae86e6, v12
	v_fmamk_f32 v17, v17, 0x3d64c772, v13
	;; [unrolled: 1-line block ×4, first 2 shown]
	v_fma_f32 v10, 0xbeae86e6, v14, -v10
	v_fma_f32 v4, 0xbf3bfb3b, v9, -v13
	;; [unrolled: 1-line block ×6, first 2 shown]
	v_fmamk_f32 v7, v11, 0xbf955555, v1
	v_fmamk_f32 v11, v19, 0xbf955555, v0
	v_fma_f32 v13, 0xbf3bfb3b, v2, -v16
	v_fma_f32 v2, 0x3f3bfb3b, v2, -v18
	v_fmac_f32_e32 v29, 0x3ee1c552, v3
	v_fmac_f32_e32 v20, 0x3ee1c552, v8
	v_fmac_f32_e32 v14, 0x3ee1c552, v8
	v_fmac_f32_e32 v12, 0x3ee1c552, v3
	v_fmac_f32_e32 v6, 0x3ee1c552, v8
	v_add_f32_e32 v15, v17, v7
	v_add_f32_e32 v16, v5, v11
	;; [unrolled: 1-line block ×3, first 2 shown]
	v_fmac_f32_e32 v10, 0x3ee1c552, v3
	v_add_f32_e32 v17, v4, v7
	v_add_f32_e32 v18, v13, v11
	;; [unrolled: 1-line block ×3, first 2 shown]
	v_sub_f32_e32 v7, v8, v12
	v_add_f32_e32 v9, v12, v8
	v_sub_f32_e32 v13, v15, v29
	v_add_f32_e32 v12, v20, v16
	v_add_f32_e32 v5, v10, v17
	v_sub_f32_e32 v8, v2, v6
	v_sub_f32_e32 v11, v17, v10
	v_add_f32_e32 v10, v14, v18
	v_sub_f32_e32 v4, v18, v14
	v_add_f32_e32 v6, v6, v2
	v_add_f32_e32 v3, v29, v15
	v_sub_f32_e32 v2, v16, v20
	ds_write2_b64 v31, v[0:1], v[12:13] offset0:10 offset1:252
	ds_write2_b64 v32, v[10:11], v[8:9] offset0:6 offset1:248
	;; [unrolled: 1-line block ×3, first 2 shown]
	ds_write_b64 v33, v[2:3] offset:12848
.LBB0_29:
	s_or_b32 exec_lo, exec_lo, s1
	s_waitcnt lgkmcnt(0)
	s_barrier
	buffer_gl0_inv
	s_and_saveexec_b32 s0, vcc_lo
	s_cbranch_execz .LBB0_31
; %bb.30:
	v_mul_lo_u32 v2, s3, v26
	v_mul_lo_u32 v3, s2, v27
	v_mad_u64_u32 v[0:1], null, s2, v26, 0
	v_lshl_add_u32 v16, v28, 3, 0
	v_mov_b32_e32 v29, 0
	v_lshlrev_b64 v[4:5], 3, v[24:25]
	v_add_nc_u32_e32 v8, 0x9a, v28
	v_add_nc_u32_e32 v10, 0x134, v28
	;; [unrolled: 1-line block ×3, first 2 shown]
	v_add3_u32 v1, v1, v3, v2
	v_lshlrev_b64 v[12:13], 3, v[28:29]
	v_mov_b32_e32 v9, v29
	v_mov_b32_e32 v11, v29
	;; [unrolled: 1-line block ×3, first 2 shown]
	v_lshlrev_b64 v[6:7], 3, v[0:1]
	ds_read2_b64 v[0:3], v16 offset1:154
	v_lshlrev_b64 v[8:9], 3, v[8:9]
	v_lshlrev_b64 v[10:11], 3, v[10:11]
	v_add_co_u32 v6, vcc_lo, s10, v6
	v_add_co_ci_u32_e32 v7, vcc_lo, s11, v7, vcc_lo
	v_add_co_u32 v20, vcc_lo, v6, v4
	v_add_co_ci_u32_e32 v21, vcc_lo, v7, v5, vcc_lo
	ds_read2_b64 v[4:7], v14 offset0:52 offset1:206
	v_add_co_u32 v12, vcc_lo, v20, v12
	v_add_co_ci_u32_e32 v13, vcc_lo, v21, v13, vcc_lo
	v_add_nc_u32_e32 v14, 0x1200, v16
	s_waitcnt lgkmcnt(1)
	global_store_dwordx2 v[12:13], v[0:1], off
	v_add_co_u32 v0, vcc_lo, v20, v8
	v_add_co_ci_u32_e32 v1, vcc_lo, v21, v9, vcc_lo
	v_add_co_u32 v8, vcc_lo, v20, v10
	v_add_co_ci_u32_e32 v9, vcc_lo, v21, v11, vcc_lo
	v_add_nc_u32_e32 v10, 0x1ce, v28
	v_mov_b32_e32 v11, v29
	global_store_dwordx2 v[0:1], v[2:3], off
	s_waitcnt lgkmcnt(0)
	global_store_dwordx2 v[8:9], v[4:5], off
	v_add_nc_u32_e32 v12, 0x268, v28
	v_mov_b32_e32 v13, v29
	ds_read2_b64 v[0:3], v14 offset0:40 offset1:194
	v_lshlrev_b64 v[4:5], 3, v[10:11]
	v_add_nc_u32_e32 v10, 0x302, v28
	v_add_nc_u32_e32 v14, 0x1c00, v16
	v_lshlrev_b64 v[8:9], 3, v[12:13]
	v_add_nc_u32_e32 v12, 0x39c, v28
	v_add_co_u32 v4, vcc_lo, v20, v4
	v_lshlrev_b64 v[10:11], 3, v[10:11]
	v_add_co_ci_u32_e32 v5, vcc_lo, v21, v5, vcc_lo
	v_add_co_u32 v8, vcc_lo, v20, v8
	v_add_co_ci_u32_e32 v9, vcc_lo, v21, v9, vcc_lo
	v_add_co_u32 v10, vcc_lo, v20, v10
	v_add_co_ci_u32_e32 v11, vcc_lo, v21, v11, vcc_lo
	global_store_dwordx2 v[4:5], v[6:7], off
	s_waitcnt lgkmcnt(0)
	global_store_dwordx2 v[8:9], v[0:1], off
	global_store_dwordx2 v[10:11], v[2:3], off
	v_lshlrev_b64 v[4:5], 3, v[12:13]
	ds_read2_b64 v[0:3], v14 offset0:28 offset1:182
	v_add_nc_u32_e32 v6, 0x436, v28
	v_mov_b32_e32 v7, v29
	v_add_nc_u32_e32 v14, 0x2400, v16
	v_add_nc_u32_e32 v8, 0x4d0, v28
	v_mov_b32_e32 v9, v29
	v_add_co_u32 v10, vcc_lo, v20, v4
	v_add_co_ci_u32_e32 v11, vcc_lo, v21, v5, vcc_lo
	v_lshlrev_b64 v[12:13], 3, v[6:7]
	ds_read2_b64 v[4:7], v14 offset0:80 offset1:234
	v_add_nc_u32_e32 v14, 0x56a, v28
	ds_read_b64 v[16:17], v16 offset:12320
	v_lshlrev_b64 v[8:9], 3, v[8:9]
	v_add_nc_u32_e32 v28, 0x604, v28
	v_add_co_u32 v12, vcc_lo, v20, v12
	v_lshlrev_b64 v[14:15], 3, v[14:15]
	v_add_co_ci_u32_e32 v13, vcc_lo, v21, v13, vcc_lo
	v_add_co_u32 v8, vcc_lo, v20, v8
	v_lshlrev_b64 v[18:19], 3, v[28:29]
	v_add_co_ci_u32_e32 v9, vcc_lo, v21, v9, vcc_lo
	v_add_co_u32 v14, vcc_lo, v20, v14
	v_add_co_ci_u32_e32 v15, vcc_lo, v21, v15, vcc_lo
	v_add_co_u32 v18, vcc_lo, v20, v18
	v_add_co_ci_u32_e32 v19, vcc_lo, v21, v19, vcc_lo
	s_waitcnt lgkmcnt(2)
	global_store_dwordx2 v[10:11], v[0:1], off
	global_store_dwordx2 v[12:13], v[2:3], off
	s_waitcnt lgkmcnt(1)
	global_store_dwordx2 v[8:9], v[4:5], off
	global_store_dwordx2 v[14:15], v[6:7], off
	s_waitcnt lgkmcnt(0)
	global_store_dwordx2 v[18:19], v[16:17], off
.LBB0_31:
	s_endpgm
	.section	.rodata,"a",@progbits
	.p2align	6, 0x0
	.amdhsa_kernel fft_rtc_fwd_len1694_factors_11_2_11_7_wgs_154_tpt_154_halfLds_sp_op_CI_CI_unitstride_sbrr_C2R_dirReg
		.amdhsa_group_segment_fixed_size 0
		.amdhsa_private_segment_fixed_size 0
		.amdhsa_kernarg_size 104
		.amdhsa_user_sgpr_count 6
		.amdhsa_user_sgpr_private_segment_buffer 1
		.amdhsa_user_sgpr_dispatch_ptr 0
		.amdhsa_user_sgpr_queue_ptr 0
		.amdhsa_user_sgpr_kernarg_segment_ptr 1
		.amdhsa_user_sgpr_dispatch_id 0
		.amdhsa_user_sgpr_flat_scratch_init 0
		.amdhsa_user_sgpr_private_segment_size 0
		.amdhsa_wavefront_size32 1
		.amdhsa_uses_dynamic_stack 0
		.amdhsa_system_sgpr_private_segment_wavefront_offset 0
		.amdhsa_system_sgpr_workgroup_id_x 1
		.amdhsa_system_sgpr_workgroup_id_y 0
		.amdhsa_system_sgpr_workgroup_id_z 0
		.amdhsa_system_sgpr_workgroup_info 0
		.amdhsa_system_vgpr_workitem_id 0
		.amdhsa_next_free_vgpr 128
		.amdhsa_next_free_sgpr 27
		.amdhsa_reserve_vcc 1
		.amdhsa_reserve_flat_scratch 0
		.amdhsa_float_round_mode_32 0
		.amdhsa_float_round_mode_16_64 0
		.amdhsa_float_denorm_mode_32 3
		.amdhsa_float_denorm_mode_16_64 3
		.amdhsa_dx10_clamp 1
		.amdhsa_ieee_mode 1
		.amdhsa_fp16_overflow 0
		.amdhsa_workgroup_processor_mode 1
		.amdhsa_memory_ordered 1
		.amdhsa_forward_progress 0
		.amdhsa_shared_vgpr_count 0
		.amdhsa_exception_fp_ieee_invalid_op 0
		.amdhsa_exception_fp_denorm_src 0
		.amdhsa_exception_fp_ieee_div_zero 0
		.amdhsa_exception_fp_ieee_overflow 0
		.amdhsa_exception_fp_ieee_underflow 0
		.amdhsa_exception_fp_ieee_inexact 0
		.amdhsa_exception_int_div_zero 0
	.end_amdhsa_kernel
	.text
.Lfunc_end0:
	.size	fft_rtc_fwd_len1694_factors_11_2_11_7_wgs_154_tpt_154_halfLds_sp_op_CI_CI_unitstride_sbrr_C2R_dirReg, .Lfunc_end0-fft_rtc_fwd_len1694_factors_11_2_11_7_wgs_154_tpt_154_halfLds_sp_op_CI_CI_unitstride_sbrr_C2R_dirReg
                                        ; -- End function
	.section	.AMDGPU.csdata,"",@progbits
; Kernel info:
; codeLenInByte = 10460
; NumSgprs: 29
; NumVgprs: 128
; ScratchSize: 0
; MemoryBound: 0
; FloatMode: 240
; IeeeMode: 1
; LDSByteSize: 0 bytes/workgroup (compile time only)
; SGPRBlocks: 3
; VGPRBlocks: 15
; NumSGPRsForWavesPerEU: 29
; NumVGPRsForWavesPerEU: 128
; Occupancy: 8
; WaveLimiterHint : 1
; COMPUTE_PGM_RSRC2:SCRATCH_EN: 0
; COMPUTE_PGM_RSRC2:USER_SGPR: 6
; COMPUTE_PGM_RSRC2:TRAP_HANDLER: 0
; COMPUTE_PGM_RSRC2:TGID_X_EN: 1
; COMPUTE_PGM_RSRC2:TGID_Y_EN: 0
; COMPUTE_PGM_RSRC2:TGID_Z_EN: 0
; COMPUTE_PGM_RSRC2:TIDIG_COMP_CNT: 0
	.text
	.p2alignl 6, 3214868480
	.fill 48, 4, 3214868480
	.type	__hip_cuid_a4f795656b37134d,@object ; @__hip_cuid_a4f795656b37134d
	.section	.bss,"aw",@nobits
	.globl	__hip_cuid_a4f795656b37134d
__hip_cuid_a4f795656b37134d:
	.byte	0                               ; 0x0
	.size	__hip_cuid_a4f795656b37134d, 1

	.ident	"AMD clang version 19.0.0git (https://github.com/RadeonOpenCompute/llvm-project roc-6.4.0 25133 c7fe45cf4b819c5991fe208aaa96edf142730f1d)"
	.section	".note.GNU-stack","",@progbits
	.addrsig
	.addrsig_sym __hip_cuid_a4f795656b37134d
	.amdgpu_metadata
---
amdhsa.kernels:
  - .args:
      - .actual_access:  read_only
        .address_space:  global
        .offset:         0
        .size:           8
        .value_kind:     global_buffer
      - .offset:         8
        .size:           8
        .value_kind:     by_value
      - .actual_access:  read_only
        .address_space:  global
        .offset:         16
        .size:           8
        .value_kind:     global_buffer
      - .actual_access:  read_only
        .address_space:  global
        .offset:         24
        .size:           8
        .value_kind:     global_buffer
      - .actual_access:  read_only
        .address_space:  global
        .offset:         32
        .size:           8
        .value_kind:     global_buffer
      - .offset:         40
        .size:           8
        .value_kind:     by_value
      - .actual_access:  read_only
        .address_space:  global
        .offset:         48
        .size:           8
        .value_kind:     global_buffer
      - .actual_access:  read_only
        .address_space:  global
        .offset:         56
        .size:           8
        .value_kind:     global_buffer
      - .offset:         64
        .size:           4
        .value_kind:     by_value
      - .actual_access:  read_only
        .address_space:  global
        .offset:         72
        .size:           8
        .value_kind:     global_buffer
      - .actual_access:  read_only
        .address_space:  global
        .offset:         80
        .size:           8
        .value_kind:     global_buffer
      - .actual_access:  read_only
        .address_space:  global
        .offset:         88
        .size:           8
        .value_kind:     global_buffer
      - .actual_access:  write_only
        .address_space:  global
        .offset:         96
        .size:           8
        .value_kind:     global_buffer
    .group_segment_fixed_size: 0
    .kernarg_segment_align: 8
    .kernarg_segment_size: 104
    .language:       OpenCL C
    .language_version:
      - 2
      - 0
    .max_flat_workgroup_size: 154
    .name:           fft_rtc_fwd_len1694_factors_11_2_11_7_wgs_154_tpt_154_halfLds_sp_op_CI_CI_unitstride_sbrr_C2R_dirReg
    .private_segment_fixed_size: 0
    .sgpr_count:     29
    .sgpr_spill_count: 0
    .symbol:         fft_rtc_fwd_len1694_factors_11_2_11_7_wgs_154_tpt_154_halfLds_sp_op_CI_CI_unitstride_sbrr_C2R_dirReg.kd
    .uniform_work_group_size: 1
    .uses_dynamic_stack: false
    .vgpr_count:     128
    .vgpr_spill_count: 0
    .wavefront_size: 32
    .workgroup_processor_mode: 1
amdhsa.target:   amdgcn-amd-amdhsa--gfx1030
amdhsa.version:
  - 1
  - 2
...

	.end_amdgpu_metadata
